;; amdgpu-corpus repo=ROCm/rocFFT kind=compiled arch=gfx906 opt=O3
	.text
	.amdgcn_target "amdgcn-amd-amdhsa--gfx906"
	.amdhsa_code_object_version 6
	.protected	fft_rtc_fwd_len660_factors_11_6_10_wgs_110_tpt_110_halfLds_sp_op_CI_CI_unitstride_sbrr_dirReg ; -- Begin function fft_rtc_fwd_len660_factors_11_6_10_wgs_110_tpt_110_halfLds_sp_op_CI_CI_unitstride_sbrr_dirReg
	.globl	fft_rtc_fwd_len660_factors_11_6_10_wgs_110_tpt_110_halfLds_sp_op_CI_CI_unitstride_sbrr_dirReg
	.p2align	8
	.type	fft_rtc_fwd_len660_factors_11_6_10_wgs_110_tpt_110_halfLds_sp_op_CI_CI_unitstride_sbrr_dirReg,@function
fft_rtc_fwd_len660_factors_11_6_10_wgs_110_tpt_110_halfLds_sp_op_CI_CI_unitstride_sbrr_dirReg: ; @fft_rtc_fwd_len660_factors_11_6_10_wgs_110_tpt_110_halfLds_sp_op_CI_CI_unitstride_sbrr_dirReg
; %bb.0:
	s_load_dwordx4 s[8:11], s[4:5], 0x58
	s_load_dwordx4 s[12:15], s[4:5], 0x0
	;; [unrolled: 1-line block ×3, first 2 shown]
	v_mul_u32_u24_e32 v1, 0x254, v0
	v_mov_b32_e32 v3, 0
	v_mov_b32_e32 v7, 0
	s_waitcnt lgkmcnt(0)
	v_cmp_lt_u64_e64 s[0:1], s[14:15], 2
	v_add_u32_sdwa v9, s6, v1 dst_sel:DWORD dst_unused:UNUSED_PAD src0_sel:DWORD src1_sel:WORD_1
	v_mov_b32_e32 v10, v3
	s_and_b64 vcc, exec, s[0:1]
	v_mov_b32_e32 v8, 0
	s_cbranch_vccnz .LBB0_8
; %bb.1:
	s_load_dwordx2 s[0:1], s[4:5], 0x10
	s_add_u32 s2, s18, 8
	s_addc_u32 s3, s19, 0
	s_add_u32 s6, s16, 8
	s_addc_u32 s7, s17, 0
	v_mov_b32_e32 v7, 0
	s_waitcnt lgkmcnt(0)
	s_add_u32 s20, s0, 8
	v_mov_b32_e32 v8, 0
	v_mov_b32_e32 v1, v7
	s_addc_u32 s21, s1, 0
	s_mov_b64 s[22:23], 1
	v_mov_b32_e32 v2, v8
.LBB0_2:                                ; =>This Inner Loop Header: Depth=1
	s_load_dwordx2 s[24:25], s[20:21], 0x0
                                        ; implicit-def: $vgpr5_vgpr6
	s_waitcnt lgkmcnt(0)
	v_or_b32_e32 v4, s25, v10
	v_cmp_ne_u64_e32 vcc, 0, v[3:4]
	s_and_saveexec_b64 s[0:1], vcc
	s_xor_b64 s[26:27], exec, s[0:1]
	s_cbranch_execz .LBB0_4
; %bb.3:                                ;   in Loop: Header=BB0_2 Depth=1
	v_cvt_f32_u32_e32 v4, s24
	v_cvt_f32_u32_e32 v5, s25
	s_sub_u32 s0, 0, s24
	s_subb_u32 s1, 0, s25
	v_mac_f32_e32 v4, 0x4f800000, v5
	v_rcp_f32_e32 v4, v4
	v_mul_f32_e32 v4, 0x5f7ffffc, v4
	v_mul_f32_e32 v5, 0x2f800000, v4
	v_trunc_f32_e32 v5, v5
	v_mac_f32_e32 v4, 0xcf800000, v5
	v_cvt_u32_f32_e32 v5, v5
	v_cvt_u32_f32_e32 v4, v4
	v_mul_lo_u32 v6, s0, v5
	v_mul_hi_u32 v11, s0, v4
	v_mul_lo_u32 v13, s1, v4
	v_mul_lo_u32 v12, s0, v4
	v_add_u32_e32 v6, v11, v6
	v_add_u32_e32 v6, v6, v13
	v_mul_hi_u32 v11, v4, v12
	v_mul_lo_u32 v13, v4, v6
	v_mul_hi_u32 v15, v4, v6
	v_mul_hi_u32 v14, v5, v12
	v_mul_lo_u32 v12, v5, v12
	v_mul_hi_u32 v16, v5, v6
	v_add_co_u32_e32 v11, vcc, v11, v13
	v_addc_co_u32_e32 v13, vcc, 0, v15, vcc
	v_mul_lo_u32 v6, v5, v6
	v_add_co_u32_e32 v11, vcc, v11, v12
	v_addc_co_u32_e32 v11, vcc, v13, v14, vcc
	v_addc_co_u32_e32 v12, vcc, 0, v16, vcc
	v_add_co_u32_e32 v6, vcc, v11, v6
	v_addc_co_u32_e32 v11, vcc, 0, v12, vcc
	v_add_co_u32_e32 v4, vcc, v4, v6
	v_addc_co_u32_e32 v5, vcc, v5, v11, vcc
	v_mul_lo_u32 v6, s0, v5
	v_mul_hi_u32 v11, s0, v4
	v_mul_lo_u32 v12, s1, v4
	v_mul_lo_u32 v13, s0, v4
	v_add_u32_e32 v6, v11, v6
	v_add_u32_e32 v6, v6, v12
	v_mul_lo_u32 v14, v4, v6
	v_mul_hi_u32 v15, v4, v13
	v_mul_hi_u32 v16, v4, v6
	v_mul_hi_u32 v12, v5, v13
	v_mul_lo_u32 v13, v5, v13
	v_mul_hi_u32 v11, v5, v6
	v_add_co_u32_e32 v14, vcc, v15, v14
	v_addc_co_u32_e32 v15, vcc, 0, v16, vcc
	v_mul_lo_u32 v6, v5, v6
	v_add_co_u32_e32 v13, vcc, v14, v13
	v_addc_co_u32_e32 v12, vcc, v15, v12, vcc
	v_addc_co_u32_e32 v11, vcc, 0, v11, vcc
	v_add_co_u32_e32 v6, vcc, v12, v6
	v_addc_co_u32_e32 v11, vcc, 0, v11, vcc
	v_add_co_u32_e32 v6, vcc, v4, v6
	v_addc_co_u32_e32 v11, vcc, v5, v11, vcc
	v_mad_u64_u32 v[4:5], s[0:1], v9, v11, 0
	v_mul_hi_u32 v12, v9, v6
	v_add_co_u32_e32 v13, vcc, v12, v4
	v_addc_co_u32_e32 v14, vcc, 0, v5, vcc
	v_mad_u64_u32 v[4:5], s[0:1], v10, v6, 0
	v_mad_u64_u32 v[11:12], s[0:1], v10, v11, 0
	v_add_co_u32_e32 v4, vcc, v13, v4
	v_addc_co_u32_e32 v4, vcc, v14, v5, vcc
	v_addc_co_u32_e32 v5, vcc, 0, v12, vcc
	v_add_co_u32_e32 v11, vcc, v4, v11
	v_addc_co_u32_e32 v6, vcc, 0, v5, vcc
	v_mul_lo_u32 v12, s25, v11
	v_mul_lo_u32 v13, s24, v6
	v_mad_u64_u32 v[4:5], s[0:1], s24, v11, 0
	v_add3_u32 v5, v5, v13, v12
	v_sub_u32_e32 v12, v10, v5
	v_mov_b32_e32 v13, s25
	v_sub_co_u32_e32 v4, vcc, v9, v4
	v_subb_co_u32_e64 v12, s[0:1], v12, v13, vcc
	v_subrev_co_u32_e64 v13, s[0:1], s24, v4
	v_subbrev_co_u32_e64 v12, s[0:1], 0, v12, s[0:1]
	v_cmp_le_u32_e64 s[0:1], s25, v12
	v_cndmask_b32_e64 v14, 0, -1, s[0:1]
	v_cmp_le_u32_e64 s[0:1], s24, v13
	v_cndmask_b32_e64 v13, 0, -1, s[0:1]
	v_cmp_eq_u32_e64 s[0:1], s25, v12
	v_cndmask_b32_e64 v12, v14, v13, s[0:1]
	v_add_co_u32_e64 v13, s[0:1], 2, v11
	v_addc_co_u32_e64 v14, s[0:1], 0, v6, s[0:1]
	v_add_co_u32_e64 v15, s[0:1], 1, v11
	v_addc_co_u32_e64 v16, s[0:1], 0, v6, s[0:1]
	v_subb_co_u32_e32 v5, vcc, v10, v5, vcc
	v_cmp_ne_u32_e64 s[0:1], 0, v12
	v_cmp_le_u32_e32 vcc, s25, v5
	v_cndmask_b32_e64 v12, v16, v14, s[0:1]
	v_cndmask_b32_e64 v14, 0, -1, vcc
	v_cmp_le_u32_e32 vcc, s24, v4
	v_cndmask_b32_e64 v4, 0, -1, vcc
	v_cmp_eq_u32_e32 vcc, s25, v5
	v_cndmask_b32_e32 v4, v14, v4, vcc
	v_cmp_ne_u32_e32 vcc, 0, v4
	v_cndmask_b32_e64 v4, v15, v13, s[0:1]
	v_cndmask_b32_e32 v6, v6, v12, vcc
	v_cndmask_b32_e32 v5, v11, v4, vcc
.LBB0_4:                                ;   in Loop: Header=BB0_2 Depth=1
	s_andn2_saveexec_b64 s[0:1], s[26:27]
	s_cbranch_execz .LBB0_6
; %bb.5:                                ;   in Loop: Header=BB0_2 Depth=1
	v_cvt_f32_u32_e32 v4, s24
	s_sub_i32 s26, 0, s24
	v_rcp_iflag_f32_e32 v4, v4
	v_mul_f32_e32 v4, 0x4f7ffffe, v4
	v_cvt_u32_f32_e32 v4, v4
	v_mul_lo_u32 v5, s26, v4
	v_mul_hi_u32 v5, v4, v5
	v_add_u32_e32 v4, v4, v5
	v_mul_hi_u32 v4, v9, v4
	v_mul_lo_u32 v5, v4, s24
	v_add_u32_e32 v6, 1, v4
	v_sub_u32_e32 v5, v9, v5
	v_subrev_u32_e32 v11, s24, v5
	v_cmp_le_u32_e32 vcc, s24, v5
	v_cndmask_b32_e32 v5, v5, v11, vcc
	v_cndmask_b32_e32 v4, v4, v6, vcc
	v_add_u32_e32 v6, 1, v4
	v_cmp_le_u32_e32 vcc, s24, v5
	v_cndmask_b32_e32 v5, v4, v6, vcc
	v_mov_b32_e32 v6, v3
.LBB0_6:                                ;   in Loop: Header=BB0_2 Depth=1
	s_or_b64 exec, exec, s[0:1]
	v_mul_lo_u32 v4, v6, s24
	v_mul_lo_u32 v13, v5, s25
	v_mad_u64_u32 v[11:12], s[0:1], v5, s24, 0
	s_load_dwordx2 s[0:1], s[6:7], 0x0
	s_load_dwordx2 s[24:25], s[2:3], 0x0
	v_add3_u32 v4, v12, v13, v4
	v_sub_co_u32_e32 v9, vcc, v9, v11
	v_subb_co_u32_e32 v4, vcc, v10, v4, vcc
	s_waitcnt lgkmcnt(0)
	v_mul_lo_u32 v10, s0, v4
	v_mul_lo_u32 v11, s1, v9
	v_mad_u64_u32 v[7:8], s[0:1], s0, v9, v[7:8]
	s_add_u32 s22, s22, 1
	s_addc_u32 s23, s23, 0
	s_add_u32 s2, s2, 8
	v_mul_lo_u32 v4, s24, v4
	v_mul_lo_u32 v12, s25, v9
	v_mad_u64_u32 v[1:2], s[0:1], s24, v9, v[1:2]
	v_add3_u32 v8, v11, v8, v10
	s_addc_u32 s3, s3, 0
	v_mov_b32_e32 v9, s14
	s_add_u32 s6, s6, 8
	v_mov_b32_e32 v10, s15
	s_addc_u32 s7, s7, 0
	v_cmp_ge_u64_e32 vcc, s[22:23], v[9:10]
	s_add_u32 s20, s20, 8
	v_add3_u32 v2, v12, v2, v4
	s_addc_u32 s21, s21, 0
	s_cbranch_vccnz .LBB0_9
; %bb.7:                                ;   in Loop: Header=BB0_2 Depth=1
	v_mov_b32_e32 v10, v6
	v_mov_b32_e32 v9, v5
	s_branch .LBB0_2
.LBB0_8:
	v_mov_b32_e32 v1, v7
	v_mov_b32_e32 v5, v9
	;; [unrolled: 1-line block ×4, first 2 shown]
.LBB0_9:
	s_mov_b32 s2, 0x253c826
	s_load_dwordx2 s[0:1], s[4:5], 0x28
	v_mul_hi_u32 v3, v0, s2
	s_lshl_b64 s[14:15], s[14:15], 3
	s_add_u32 s4, s18, s14
	s_addc_u32 s5, s19, s15
	v_mul_u32_u24_e32 v3, 0x6e, v3
	s_waitcnt lgkmcnt(0)
	v_cmp_gt_u64_e64 s[0:1], s[0:1], v[5:6]
	v_sub_u32_e32 v3, v0, v3
	v_cmp_gt_u32_e64 s[2:3], 60, v3
	s_and_b64 s[18:19], s[0:1], s[2:3]
	v_mov_b32_e32 v15, 0
	v_mov_b32_e32 v14, 0
                                        ; implicit-def: $vgpr17
                                        ; implicit-def: $vgpr19
                                        ; implicit-def: $vgpr21
                                        ; implicit-def: $vgpr25
                                        ; implicit-def: $vgpr27
                                        ; implicit-def: $vgpr23
                                        ; implicit-def: $vgpr29
                                        ; implicit-def: $vgpr33
                                        ; implicit-def: $vgpr31
                                        ; implicit-def: $vgpr35
	s_and_saveexec_b64 s[6:7], s[18:19]
	s_cbranch_execz .LBB0_11
; %bb.10:
	s_add_u32 s14, s16, s14
	s_addc_u32 s15, s17, s15
	s_load_dwordx2 s[14:15], s[14:15], 0x0
	v_mov_b32_e32 v12, s9
	v_lshlrev_b64 v[7:8], 3, v[7:8]
	v_mov_b32_e32 v4, 0
	s_waitcnt lgkmcnt(0)
	v_mul_lo_u32 v0, s15, v5
	v_mul_lo_u32 v11, s14, v6
	v_mad_u64_u32 v[9:10], s[14:15], s14, v5, 0
	v_add3_u32 v10, v10, v11, v0
	v_lshlrev_b64 v[9:10], 3, v[9:10]
	v_add_co_u32_e32 v0, vcc, s8, v9
	v_addc_co_u32_e32 v9, vcc, v12, v10, vcc
	v_add_co_u32_e32 v0, vcc, v0, v7
	v_addc_co_u32_e32 v9, vcc, v9, v8, vcc
	v_lshlrev_b64 v[7:8], 3, v[3:4]
	v_add_co_u32_e32 v7, vcc, v0, v7
	v_addc_co_u32_e32 v8, vcc, v9, v8, vcc
	global_load_dwordx2 v[14:15], v[7:8], off
	global_load_dwordx2 v[16:17], v[7:8], off offset:480
	global_load_dwordx2 v[18:19], v[7:8], off offset:960
	;; [unrolled: 1-line block ×7, first 2 shown]
	v_add_co_u32_e32 v9, vcc, 0x1000, v7
	v_addc_co_u32_e32 v10, vcc, 0, v8, vcc
	global_load_dwordx2 v[32:33], v[7:8], off offset:3840
	global_load_dwordx2 v[28:29], v[9:10], off offset:224
	;; [unrolled: 1-line block ×3, first 2 shown]
.LBB0_11:
	s_or_b64 exec, exec, s[6:7]
	s_waitcnt vmcnt(0)
	v_add_f32_e32 v0, v16, v22
	v_mul_f32_e32 v12, 0x3ed4b147, v0
	v_sub_f32_e32 v11, v17, v23
	v_mov_b32_e32 v4, v12
	v_fmac_f32_e32 v4, 0xbf68dda4, v11
	v_add_f32_e32 v7, v14, v4
	v_add_f32_e32 v4, v18, v28
	v_mul_f32_e32 v37, 0xbf27a4f4, v4
	v_sub_f32_e32 v13, v19, v29
	v_mov_b32_e32 v8, v37
	v_fmac_f32_e32 v8, 0xbf4178ce, v13
	v_mul_f32_e32 v40, 0xbe11bafb, v0
	v_add_f32_e32 v7, v7, v8
	v_mov_b32_e32 v8, v40
	v_mul_f32_e32 v41, 0xbf75a155, v4
	v_fmac_f32_e32 v8, 0xbf7d64f0, v11
	v_mov_b32_e32 v9, v41
	v_add_f32_e32 v36, v20, v32
	v_add_f32_e32 v8, v14, v8
	v_fmac_f32_e32 v9, 0x3e903f40, v13
	v_mul_f32_e32 v43, 0xbf75a155, v36
	v_add_f32_e32 v8, v8, v9
	v_sub_f32_e32 v39, v21, v33
	v_mov_b32_e32 v9, v43
	v_fmac_f32_e32 v9, 0x3e903f40, v39
	v_mul_f32_e32 v46, 0x3ed4b147, v36
	v_add_f32_e32 v7, v7, v9
	v_mov_b32_e32 v9, v46
	v_add_f32_e32 v38, v24, v30
	v_fmac_f32_e32 v9, 0x3f68dda4, v39
	v_mul_f32_e32 v47, 0xbe11bafb, v38
	v_add_f32_e32 v8, v8, v9
	v_sub_f32_e32 v42, v25, v31
	v_mov_b32_e32 v9, v47
	v_fmac_f32_e32 v9, 0x3f7d64f0, v42
	v_mul_f32_e32 v48, 0x3f575c64, v38
	v_add_f32_e32 v7, v7, v9
	v_mov_b32_e32 v9, v48
	;; [unrolled: 10-line block ×3, first 2 shown]
	v_fmac_f32_e32 v7, 0xbf4178ce, v45
	v_mul_f32_e32 v51, 0xbf27a4f4, v0
	v_add_f32_e32 v7, v9, v7
	v_mov_b32_e32 v9, v51
	v_mul_f32_e32 v52, 0xbe11bafb, v4
	v_fmac_f32_e32 v9, 0xbf4178ce, v11
	v_mov_b32_e32 v10, v52
	v_add_f32_e32 v9, v14, v9
	v_fmac_f32_e32 v10, 0x3f7d64f0, v13
	v_mul_f32_e32 v56, 0xbf75a155, v0
	v_add_f32_e32 v9, v9, v10
	v_mov_b32_e32 v10, v56
	v_mul_f32_e32 v57, 0x3f575c64, v4
	v_fmac_f32_e32 v10, 0xbe903f40, v11
	v_mov_b32_e32 v53, v57
	v_add_f32_e32 v10, v14, v10
	v_fmac_f32_e32 v53, 0x3f0a6770, v13
	v_add_f32_e32 v10, v10, v53
	v_mul_f32_e32 v53, 0x3f575c64, v36
	v_mov_b32_e32 v54, v53
	v_fmac_f32_e32 v54, 0xbf0a6770, v39
	v_mul_f32_e32 v58, 0xbf27a4f4, v36
	v_add_f32_e32 v9, v9, v54
	v_mov_b32_e32 v54, v58
	v_fmac_f32_e32 v54, 0xbf4178ce, v39
	v_add_f32_e32 v10, v10, v54
	v_mul_f32_e32 v54, 0xbf75a155, v38
	v_mov_b32_e32 v55, v54
	v_fmac_f32_e32 v55, 0xbe903f40, v42
	v_mul_f32_e32 v59, 0x3ed4b147, v38
	v_add_f32_e32 v9, v9, v55
	v_mov_b32_e32 v55, v59
	;; [unrolled: 8-line block ×3, first 2 shown]
	v_fmac_f32_e32 v9, 0xbf7d64f0, v45
	v_add_f32_e32 v9, v61, v9
	s_mov_b32 s9, 0x3ed4b147
	s_mov_b32 s8, 0xbe11bafb
	;; [unrolled: 1-line block ×5, first 2 shown]
	s_and_saveexec_b64 s[6:7], s[2:3]
	s_cbranch_execz .LBB0_13
; %bb.12:
	v_mul_f32_e32 v62, 0xbe903f40, v11
	v_sub_f32_e32 v56, v56, v62
	v_mul_f32_e32 v62, 0x3f0a6770, v13
	v_sub_f32_e32 v57, v57, v62
	v_add_f32_e32 v56, v14, v56
	v_add_f32_e32 v56, v56, v57
	v_mul_f32_e32 v57, 0xbf4178ce, v39
	v_sub_f32_e32 v57, v58, v57
	v_add_f32_e32 v56, v56, v57
	v_mul_f32_e32 v57, 0x3f68dda4, v42
	v_sub_f32_e32 v57, v59, v57
	v_add_f32_e32 v56, v56, v57
	v_mul_f32_e32 v57, 0xbf7d64f0, v45
	v_mul_f32_e32 v58, 0xbf4178ce, v11
	v_sub_f32_e32 v57, v60, v57
	v_add_f32_e32 v56, v56, v57
	v_mul_f32_e32 v57, 0x3f7d64f0, v13
	v_sub_f32_e32 v51, v51, v58
	v_sub_f32_e32 v52, v52, v57
	v_add_f32_e32 v51, v14, v51
	v_add_f32_e32 v51, v51, v52
	v_mul_f32_e32 v52, 0xbf0a6770, v39
	v_mul_f32_e32 v61, 0xbf68dda4, v11
	v_sub_f32_e32 v52, v53, v52
	v_mul_f32_e32 v62, 0xbf7d64f0, v11
	v_mul_f32_e32 v59, 0xbf4178ce, v13
	v_add_f32_e32 v51, v51, v52
	v_mul_f32_e32 v52, 0xbe903f40, v42
	v_sub_f32_e32 v12, v12, v61
	v_mul_f32_e32 v60, 0x3e903f40, v13
	v_mul_f32_e32 v58, 0x3e903f40, v39
	v_sub_f32_e32 v52, v54, v52
	v_sub_f32_e32 v40, v40, v62
	v_add_f32_e32 v12, v14, v12
	v_sub_f32_e32 v37, v37, v59
	v_mul_f32_e32 v57, 0x3f68dda4, v39
	v_mul_f32_e32 v53, 0x3f7d64f0, v42
	v_add_f32_e32 v51, v51, v52
	v_mul_f32_e32 v52, 0x3f68dda4, v45
	v_add_f32_e32 v40, v14, v40
	v_sub_f32_e32 v41, v41, v60
	v_add_f32_e32 v12, v12, v37
	v_sub_f32_e32 v37, v43, v58
	v_mul_f32_e32 v54, 0xbf0a6770, v42
	v_sub_f32_e32 v52, v55, v52
	v_mul_f32_e32 v55, 0x3f0a6770, v45
	v_add_f32_e32 v40, v40, v41
	v_sub_f32_e32 v41, v46, v57
	v_add_f32_e32 v12, v12, v37
	v_sub_f32_e32 v37, v47, v53
	v_add_f32_e32 v51, v51, v52
	v_mul_f32_e32 v52, 0xbf4178ce, v45
	v_add_f32_e32 v40, v40, v41
	v_sub_f32_e32 v41, v48, v54
	v_add_f32_e32 v12, v12, v37
	v_sub_f32_e32 v37, v49, v55
	v_mul_f32_e32 v11, 0xbf0a6770, v11
	v_add_f32_e32 v40, v40, v41
	v_sub_f32_e32 v41, v50, v52
	v_add_f32_e32 v12, v12, v37
	v_mov_b32_e32 v37, v11
	v_mul_f32_e32 v13, 0xbf68dda4, v13
	v_add_f32_e32 v40, v40, v41
	v_fmac_f32_e32 v37, 0x3f575c64, v0
	v_mov_b32_e32 v41, v13
	v_add_f32_e32 v37, v14, v37
	v_fmac_f32_e32 v41, 0x3ed4b147, v4
	v_mul_f32_e32 v39, 0xbf7d64f0, v39
	v_add_f32_e32 v37, v37, v41
	v_mov_b32_e32 v41, v39
	v_fmac_f32_e32 v41, 0xbe11bafb, v36
	v_add_f32_e32 v37, v37, v41
	v_mul_f32_e32 v41, 0xbf4178ce, v42
	v_fma_f32 v0, v0, s15, -v11
	v_mov_b32_e32 v42, v41
	v_add_f32_e32 v0, v14, v0
	v_fma_f32 v4, v4, s9, -v13
	v_fmac_f32_e32 v42, 0xbf27a4f4, v38
	v_add_f32_e32 v0, v0, v4
	v_fma_f32 v4, v36, s8, -v39
	v_add_f32_e32 v37, v37, v42
	v_mul_f32_e32 v42, 0xbe903f40, v45
	v_add_f32_e32 v0, v0, v4
	v_fma_f32 v4, v38, s14, -v41
	v_add_f32_e32 v0, v0, v4
	v_fma_f32 v4, v44, s16, -v42
	v_add_f32_e32 v0, v0, v4
	v_add_f32_e32 v4, v14, v16
	;; [unrolled: 1-line block ×9, first 2 shown]
	v_mov_b32_e32 v43, v42
	v_add_f32_e32 v4, v28, v4
	v_fmac_f32_e32 v43, 0xbf75a155, v44
	v_add_f32_e32 v4, v22, v4
	v_mad_u32_u24 v11, v3, 44, 0
	v_add_f32_e32 v37, v37, v43
	ds_write2_b32 v11, v4, v0 offset1:1
	ds_write2_b32 v11, v12, v40 offset0:2 offset1:3
	ds_write2_b32 v11, v51, v56 offset0:4 offset1:5
	;; [unrolled: 1-line block ×4, first 2 shown]
	ds_write_b32 v11, v37 offset:40
.LBB0_13:
	s_or_b64 exec, exec, s[6:7]
	v_sub_f32_e32 v62, v16, v22
	v_add_f32_e32 v61, v17, v23
	v_mul_f32_e32 v57, 0xbf68dda4, v62
	v_sub_f32_e32 v56, v18, v28
	v_fma_f32 v0, v61, s9, -v57
	v_mul_f32_e32 v58, 0xbf7d64f0, v62
	v_add_f32_e32 v46, v19, v29
	v_mul_f32_e32 v42, 0xbf4178ce, v56
	v_add_f32_e32 v0, v15, v0
	v_fma_f32 v4, v61, s8, -v58
	v_mul_f32_e32 v59, 0xbf4178ce, v62
	v_fma_f32 v13, v46, s14, -v42
	v_mul_f32_e32 v47, 0x3e903f40, v56
	v_add_f32_e32 v4, v15, v4
	v_fma_f32 v11, v61, s14, -v59
	v_mul_f32_e32 v60, 0xbe903f40, v62
	v_add_f32_e32 v0, v0, v13
	;; [unrolled: 3-line block ×3, first 2 shown]
	v_fma_f32 v12, v61, s16, -v60
	v_add_f32_e32 v4, v4, v13
	v_fma_f32 v13, v46, s8, -v50
	v_mul_f32_e32 v52, 0x3f0a6770, v56
	v_sub_f32_e32 v55, v20, v32
	v_add_f32_e32 v12, v15, v12
	v_add_f32_e32 v11, v11, v13
	v_fma_f32 v13, v46, s15, -v52
	v_add_f32_e32 v28, v21, v33
	v_mul_f32_e32 v32, 0x3e903f40, v55
	v_add_f32_e32 v12, v12, v13
	v_fma_f32 v13, v28, s16, -v32
	v_mul_f32_e32 v43, 0x3f68dda4, v55
	v_add_f32_e32 v0, v0, v13
	v_fma_f32 v13, v28, s9, -v43
	;; [unrolled: 3-line block ×3, first 2 shown]
	v_mul_f32_e32 v51, 0xbf4178ce, v55
	v_sub_f32_e32 v54, v24, v30
	v_add_f32_e32 v11, v11, v13
	v_fma_f32 v13, v28, s14, -v51
	v_add_f32_e32 v22, v25, v31
	v_mul_f32_e32 v24, 0x3f7d64f0, v54
	v_add_f32_e32 v12, v12, v13
	v_fma_f32 v13, v22, s8, -v24
	v_mul_f32_e32 v30, 0xbf0a6770, v54
	v_add_f32_e32 v0, v0, v13
	v_fma_f32 v13, v22, s15, -v30
	;; [unrolled: 3-line block ×3, first 2 shown]
	v_mul_f32_e32 v49, 0x3f68dda4, v54
	v_sub_f32_e32 v53, v26, v34
	v_add_f32_e32 v11, v11, v13
	v_fma_f32 v13, v22, s9, -v49
	v_add_f32_e32 v18, v27, v35
	v_mul_f32_e32 v20, 0x3f0a6770, v53
	v_add_f32_e32 v63, v12, v13
	v_fma_f32 v12, v18, s15, -v20
	v_mul_f32_e32 v26, 0xbf4178ce, v53
	v_add_f32_e32 v14, v0, v12
	v_fma_f32 v0, v18, s14, -v26
	;; [unrolled: 3-line block ×3, first 2 shown]
	v_add_f32_e32 v12, v11, v0
	v_lshl_add_u32 v0, v3, 2, 0
	s_waitcnt lgkmcnt(0)
	s_barrier
	v_add_u32_e32 v4, 0x200, v0
	v_add_u32_e32 v16, 0x600, v0
	ds_read2_b32 v[36:37], v0 offset1:110
	ds_read2_b32 v[40:41], v4 offset0:92 offset1:202
	ds_read2_b32 v[38:39], v16 offset0:56 offset1:166
	v_mul_f32_e32 v45, 0xbf7d64f0, v53
	v_fma_f32 v11, v18, s8, -v45
	v_add_f32_e32 v11, v63, v11
	s_waitcnt lgkmcnt(0)
	s_barrier
	s_and_saveexec_b64 s[6:7], s[2:3]
	s_cbranch_execz .LBB0_15
; %bb.14:
	v_add_f32_e32 v17, v15, v17
	v_add_f32_e32 v17, v17, v19
	;; [unrolled: 1-line block ×5, first 2 shown]
	v_mul_f32_e32 v21, 0xbe11bafb, v61
	v_add_f32_e32 v17, v17, v35
	v_mul_f32_e32 v25, 0xbf27a4f4, v61
	v_add_f32_e32 v17, v31, v17
	v_mul_f32_e32 v31, 0xbf75a155, v46
	v_mul_f32_e32 v62, 0xbf0a6770, v62
	v_add_f32_e32 v21, v21, v58
	v_mul_f32_e32 v19, 0x3ed4b147, v61
	v_mul_f32_e32 v27, 0xbf75a155, v61
	;; [unrolled: 1-line block ×3, first 2 shown]
	v_add_f32_e32 v17, v33, v17
	s_mov_b32 s2, 0x3f575c64
	v_mov_b32_e32 v66, v62
	v_add_f32_e32 v25, v25, v59
	v_add_f32_e32 v21, v15, v21
	;; [unrolled: 1-line block ×3, first 2 shown]
	v_mul_f32_e32 v33, 0x3f575c64, v46
	v_add_f32_e32 v17, v29, v17
	v_fmac_f32_e32 v66, 0x3f575c64, v61
	v_fma_f32 v61, v61, s2, -v62
	v_add_f32_e32 v19, v19, v57
	v_add_f32_e32 v27, v27, v60
	;; [unrolled: 1-line block ×5, first 2 shown]
	v_mul_f32_e32 v29, 0x3ed4b147, v28
	v_add_f32_e32 v17, v23, v17
	v_mul_f32_e32 v23, 0xbf27a4f4, v28
	v_add_f32_e32 v66, v15, v66
	v_add_f32_e32 v61, v15, v61
	;; [unrolled: 1-line block ×4, first 2 shown]
	v_mul_f32_e32 v56, 0xbf68dda4, v56
	v_add_f32_e32 v25, v25, v31
	v_add_f32_e32 v31, v33, v52
	v_mul_f32_e32 v35, 0xbf27a4f4, v46
	v_mul_f32_e32 v65, 0x3f575c64, v28
	v_mov_b32_e32 v67, v56
	s_mov_b32 s2, 0x3ed4b147
	v_add_f32_e32 v15, v15, v31
	v_mul_f32_e32 v31, 0xbf7d64f0, v55
	v_add_f32_e32 v29, v29, v43
	v_add_f32_e32 v23, v23, v51
	v_mul_f32_e32 v64, 0xbf75a155, v28
	v_fmac_f32_e32 v67, 0x3ed4b147, v46
	v_fma_f32 v46, v46, s2, -v56
	v_add_f32_e32 v35, v35, v42
	s_mov_b32 s2, 0xbe11bafb
	v_mov_b32_e32 v33, v31
	v_add_f32_e32 v21, v21, v29
	v_add_f32_e32 v29, v65, v48
	;; [unrolled: 1-line block ×3, first 2 shown]
	v_mul_f32_e32 v23, 0xbf4178ce, v54
	v_mul_f32_e32 v62, 0xbe11bafb, v22
	v_add_f32_e32 v19, v19, v35
	v_fmac_f32_e32 v33, 0xbe11bafb, v28
	v_fma_f32 v28, v28, s2, -v31
	v_add_f32_e32 v31, v64, v32
	v_add_f32_e32 v25, v25, v29
	s_mov_b32 s2, 0xbf27a4f4
	v_mov_b32_e32 v29, v23
	v_mul_f32_e32 v57, 0x3f575c64, v22
	v_mul_f32_e32 v58, 0xbf75a155, v22
	;; [unrolled: 1-line block ×3, first 2 shown]
	v_add_f32_e32 v19, v19, v31
	v_fmac_f32_e32 v29, 0xbf27a4f4, v22
	v_fma_f32 v22, v22, s2, -v23
	v_add_f32_e32 v23, v62, v24
	v_add_f32_e32 v19, v19, v23
	;; [unrolled: 1-line block ×8, first 2 shown]
	v_mul_f32_e32 v24, 0xbe903f40, v53
	v_mul_f32_e32 v60, 0x3f575c64, v18
	v_add_f32_e32 v66, v66, v67
	v_add_f32_e32 v28, v46, v28
	;; [unrolled: 1-line block ×3, first 2 shown]
	s_mov_b32 s2, 0xbf75a155
	v_mov_b32_e32 v25, v24
	v_mul_f32_e32 v27, 0xbf27a4f4, v18
	v_mul_f32_e32 v67, 0x3ed4b147, v18
	;; [unrolled: 1-line block ×3, first 2 shown]
	v_add_f32_e32 v33, v66, v33
	v_add_f32_e32 v22, v28, v22
	v_fmac_f32_e32 v25, 0xbf75a155, v18
	v_fma_f32 v18, v18, s2, -v24
	v_add_f32_e32 v20, v60, v20
	v_add_f32_e32 v29, v33, v29
	;; [unrolled: 1-line block ×10, first 2 shown]
	v_mad_u32_u24 v22, v3, 40, v0
	v_add_f32_e32 v21, v23, v21
	ds_write2_b32 v22, v17, v25 offset1:1
	ds_write2_b32 v22, v19, v20 offset0:2 offset1:3
	ds_write2_b32 v22, v21, v15 offset0:4 offset1:5
	;; [unrolled: 1-line block ×4, first 2 shown]
	ds_write_b32 v22, v18 offset:40
.LBB0_15:
	s_or_b64 exec, exec, s[6:7]
	s_load_dwordx2 s[2:3], s[4:5], 0x0
	s_movk_i32 s4, 0x75
	v_mul_lo_u16_sdwa v15, v3, s4 dst_sel:DWORD dst_unused:UNUSED_PAD src0_sel:BYTE_0 src1_sel:DWORD
	v_sub_u16_sdwa v17, v3, v15 dst_sel:DWORD dst_unused:UNUSED_PAD src0_sel:DWORD src1_sel:BYTE_1
	v_lshrrev_b16_e32 v17, 1, v17
	v_and_b32_e32 v17, 0x7f, v17
	v_add_u16_sdwa v15, v17, v15 dst_sel:DWORD dst_unused:UNUSED_PAD src0_sel:DWORD src1_sel:BYTE_1
	v_lshrrev_b16_e32 v17, 3, v15
	v_mul_lo_u16_e32 v15, 11, v17
	v_sub_u16_e32 v18, v3, v15
	v_mov_b32_e32 v15, 5
	v_mul_u32_u24_sdwa v15, v18, v15 dst_sel:DWORD dst_unused:UNUSED_PAD src0_sel:BYTE_0 src1_sel:DWORD
	v_lshlrev_b32_e32 v15, 3, v15
	s_waitcnt lgkmcnt(0)
	s_barrier
	global_load_dwordx4 v[19:22], v15, s[12:13]
	global_load_dwordx4 v[29:32], v15, s[12:13] offset:16
	global_load_dwordx2 v[33:34], v15, s[12:13] offset:32
	ds_read2_b32 v[23:24], v0 offset1:110
	ds_read2_b32 v[42:43], v4 offset0:92 offset1:202
	ds_read2_b32 v[15:16], v16 offset0:56 offset1:166
	v_mov_b32_e32 v4, 2
	v_mul_u32_u24_e32 v17, 0x108, v17
	v_lshlrev_b32_sdwa v4, v4, v18 dst_sel:DWORD dst_unused:UNUSED_PAD src0_sel:DWORD src1_sel:BYTE_0
	v_add3_u32 v4, 0, v17, v4
	s_movk_i32 s4, 0x42
	v_cmp_gt_u32_e32 vcc, s4, v3
	s_waitcnt vmcnt(0) lgkmcnt(0)
	s_barrier
	v_mul_f32_e32 v25, v24, v20
	v_mul_f32_e32 v17, v37, v20
	;; [unrolled: 1-line block ×10, first 2 shown]
	v_fma_f32 v25, v37, v19, -v25
	v_fmac_f32_e32 v17, v24, v19
	v_fma_f32 v19, v41, v29, -v22
	v_fmac_f32_e32 v18, v43, v29
	v_fmac_f32_e32 v28, v15, v31
	v_fma_f32 v15, v39, v33, -v32
	v_fmac_f32_e32 v26, v16, v33
	v_fma_f32 v24, v40, v21, -v20
	v_fma_f32 v29, v38, v31, -v30
	v_add_f32_e32 v30, v19, v15
	v_add_f32_e32 v31, v18, v26
	;; [unrolled: 1-line block ×4, first 2 shown]
	v_fmac_f32_e32 v25, -0.5, v30
	v_fma_f32 v30, -0.5, v31, v17
	v_fmac_f32_e32 v27, v42, v21
	v_add_f32_e32 v16, v36, v24
	v_sub_f32_e32 v33, v18, v26
	v_sub_f32_e32 v19, v19, v15
	v_fmac_f32_e32 v36, -0.5, v20
	v_mov_b32_e32 v32, v30
	v_sub_f32_e32 v21, v27, v28
	v_add_f32_e32 v16, v16, v29
	v_add_f32_e32 v20, v22, v15
	v_mov_b32_e32 v34, v36
	v_mov_b32_e32 v31, v25
	v_fmac_f32_e32 v25, 0xbf5db3d7, v33
	v_fmac_f32_e32 v32, 0xbf5db3d7, v19
	;; [unrolled: 1-line block ×4, first 2 shown]
	v_add_f32_e32 v15, v16, v20
	v_sub_f32_e32 v20, v16, v20
	v_fmac_f32_e32 v34, 0x3f5db3d7, v21
	v_fmac_f32_e32 v31, 0x3f5db3d7, v33
	v_mul_f32_e32 v16, -0.5, v25
	v_mul_f32_e32 v21, 0x3f5db3d7, v32
	v_fmac_f32_e32 v16, 0x3f5db3d7, v30
	v_fmac_f32_e32 v21, 0.5, v31
	v_add_f32_e32 v19, v36, v16
	v_sub_f32_e32 v22, v36, v16
	v_add_f32_e32 v16, v34, v21
	v_sub_f32_e32 v21, v34, v21
	ds_write2_b32 v4, v19, v20 offset0:22 offset1:33
	ds_write2_b32 v4, v15, v16 offset1:11
	ds_write2_b32 v4, v21, v22 offset0:44 offset1:55
	s_waitcnt lgkmcnt(0)
	s_barrier
	s_and_saveexec_b64 s[4:5], vcc
	s_cbranch_execz .LBB0_17
; %bb.16:
	v_add_u32_e32 v7, 0x400, v0
	ds_read2_b32 v[15:16], v0 offset1:66
	ds_read2_b32 v[19:20], v0 offset0:132 offset1:198
	ds_read2_b32 v[21:22], v7 offset0:8 offset1:74
	;; [unrolled: 1-line block ×3, first 2 shown]
	v_add_u32_e32 v7, 0x800, v0
	ds_read2_b32 v[7:8], v7 offset0:16 offset1:82
.LBB0_17:
	s_or_b64 exec, exec, s[4:5]
	v_add_f32_e32 v33, v23, v27
	v_add_f32_e32 v27, v27, v28
	v_fmac_f32_e32 v23, -0.5, v27
	v_add_f32_e32 v33, v33, v28
	v_sub_f32_e32 v24, v24, v29
	v_mov_b32_e32 v27, v23
	v_add_f32_e32 v17, v17, v18
	v_mul_f32_e32 v28, 0xbf5db3d7, v31
	v_mul_f32_e32 v29, -0.5, v30
	v_fmac_f32_e32 v27, 0xbf5db3d7, v24
	v_fmac_f32_e32 v23, 0x3f5db3d7, v24
	v_add_f32_e32 v26, v17, v26
	v_fmac_f32_e32 v28, 0.5, v32
	v_fmac_f32_e32 v29, 0xbf5db3d7, v25
	v_add_f32_e32 v17, v33, v26
	v_add_f32_e32 v18, v27, v28
	v_add_f32_e32 v24, v23, v29
	v_sub_f32_e32 v25, v33, v26
	v_sub_f32_e32 v26, v27, v28
	;; [unrolled: 1-line block ×3, first 2 shown]
	s_waitcnt lgkmcnt(0)
	s_barrier
	ds_write2_b32 v4, v17, v18 offset1:11
	ds_write2_b32 v4, v24, v25 offset0:22 offset1:33
	ds_write2_b32 v4, v26, v27 offset0:44 offset1:55
	s_waitcnt lgkmcnt(0)
	s_barrier
	s_and_saveexec_b64 s[4:5], vcc
	s_cbranch_execnz .LBB0_20
; %bb.18:
	s_or_b64 exec, exec, s[4:5]
	s_and_b64 s[0:1], s[0:1], vcc
	s_and_saveexec_b64 s[4:5], s[0:1]
	s_cbranch_execnz .LBB0_21
.LBB0_19:
	s_endpgm
.LBB0_20:
	ds_read2_b32 v[17:18], v0 offset1:66
	ds_read2_b32 v[24:25], v0 offset0:132 offset1:198
	v_add_u32_e32 v4, 0x400, v0
	v_add_u32_e32 v0, 0x800, v0
	ds_read2_b32 v[26:27], v4 offset0:8 offset1:74
	ds_read2_b32 v[11:12], v4 offset0:140 offset1:206
	;; [unrolled: 1-line block ×3, first 2 shown]
	s_or_b64 exec, exec, s[4:5]
	s_and_b64 s[0:1], s[0:1], vcc
	s_and_saveexec_b64 s[4:5], s[0:1]
	s_cbranch_execz .LBB0_19
.LBB0_21:
	v_mul_u32_u24_e32 v0, 9, v3
	v_lshlrev_b32_e32 v0, 3, v0
	global_load_dwordx4 v[28:31], v0, s[12:13] offset:440
	global_load_dwordx4 v[32:35], v0, s[12:13] offset:456
	;; [unrolled: 1-line block ×4, first 2 shown]
	global_load_dwordx2 v[44:45], v0, s[12:13] offset:504
	v_mul_lo_u32 v0, s3, v5
	v_mul_lo_u32 v4, s2, v6
	v_mad_u64_u32 v[5:6], s[0:1], s2, v5, 0
	s_mov_b32 s3, 0xbf167918
	s_mov_b32 s1, 0x3f167918
	v_add3_u32 v6, v6, v4, v0
	v_lshlrev_b64 v[5:6], 3, v[5:6]
	s_mov_b32 s0, 0x3f737871
	v_add_co_u32_e32 v5, vcc, s10, v5
	s_mov_b32 s2, 0xbf737871
	s_waitcnt vmcnt(4) lgkmcnt(3)
	v_mul_f32_e32 v0, v24, v30
	s_waitcnt vmcnt(3) lgkmcnt(2)
	v_mul_f32_e32 v4, v26, v34
	v_mul_f32_e32 v47, v25, v33
	s_waitcnt vmcnt(1) lgkmcnt(1)
	v_mul_f32_e32 v46, v11, v42
	;; [unrolled: 3-line block ×3, first 2 shown]
	v_mul_f32_e32 v50, v12, v37
	v_mul_f32_e32 v33, v20, v33
	;; [unrolled: 1-line block ×5, first 2 shown]
	v_fmac_f32_e32 v4, v21, v35
	v_fmac_f32_e32 v46, v9, v43
	v_mul_f32_e32 v23, v13, v38
	v_mul_f32_e32 v26, v26, v35
	;; [unrolled: 1-line block ×6, first 2 shown]
	v_fmac_f32_e32 v0, v19, v31
	v_fma_f32 v22, v22, v40, -v48
	v_fma_f32 v31, v10, v36, -v50
	v_fmac_f32_e32 v33, v25, v32
	v_fmac_f32_e32 v45, v14, v44
	;; [unrolled: 1-line block ×4, first 2 shown]
	v_add_f32_e32 v10, v4, v46
	v_mul_f32_e32 v11, v11, v43
	v_fma_f32 v21, v21, v34, -v26
	v_fma_f32 v19, v19, v30, -v24
	;; [unrolled: 1-line block ×4, first 2 shown]
	v_fmac_f32_e32 v29, v18, v28
	v_add_f32_e32 v14, v22, v31
	v_sub_f32_e32 v25, v33, v41
	v_sub_f32_e32 v27, v45, v37
	v_add_f32_e32 v35, v41, v37
	v_fma_f32 v40, -0.5, v10, v17
	v_fmac_f32_e32 v23, v7, v39
	v_fma_f32 v26, v9, v42, -v11
	v_sub_f32_e32 v11, v19, v24
	v_fma_f32 v42, -0.5, v14, v34
	v_add_f32_e32 v14, v25, v27
	v_fma_f32 v25, -0.5, v35, v29
	v_mov_b32_e32 v35, v40
	v_fma_f32 v30, v8, v44, -v49
	v_sub_f32_e32 v7, v0, v4
	v_sub_f32_e32 v8, v23, v46
	;; [unrolled: 1-line block ×3, first 2 shown]
	v_fmac_f32_e32 v35, 0x3f737871, v11
	v_fmac_f32_e32 v40, 0xbf737871, v11
	v_add_f32_e32 v7, v7, v8
	v_fmac_f32_e32 v35, 0x3f167918, v9
	v_fmac_f32_e32 v40, 0xbf167918, v9
	v_fmac_f32_e32 v35, 0x3e9e377a, v7
	v_fmac_f32_e32 v40, 0x3e9e377a, v7
	v_add_f32_e32 v7, v17, v0
	v_fma_f32 v20, v20, v32, -v47
	v_add_f32_e32 v7, v7, v4
	v_add_f32_e32 v39, v0, v23
	v_sub_f32_e32 v10, v22, v20
	v_sub_f32_e32 v44, v31, v30
	v_add_f32_e32 v7, v7, v46
	v_sub_f32_e32 v12, v20, v22
	v_sub_f32_e32 v13, v30, v31
	;; [unrolled: 1-line block ×4, first 2 shown]
	v_fma_f32 v27, -0.5, v39, v17
	v_add_f32_e32 v44, v10, v44
	v_add_f32_e32 v10, v20, v30
	;; [unrolled: 1-line block ×4, first 2 shown]
	v_sub_f32_e32 v16, v33, v45
	v_sub_f32_e32 v32, v20, v30
	v_add_f32_e32 v13, v12, v13
	v_add_f32_e32 v12, v36, v38
	v_mov_b32_e32 v36, v42
	v_mov_b32_e32 v38, v25
	v_fma_f32 v47, -0.5, v10, v34
	v_sub_f32_e32 v10, v41, v33
	v_sub_f32_e32 v49, v37, v45
	v_add_f32_e32 v7, v41, v7
	v_sub_f32_e32 v18, v41, v37
	v_sub_f32_e32 v28, v22, v31
	v_fmac_f32_e32 v36, 0xbf737871, v16
	v_fmac_f32_e32 v38, 0x3f737871, v32
	v_mov_b32_e32 v43, v27
	v_add_f32_e32 v49, v10, v49
	v_add_f32_e32 v10, v33, v45
	v_fmac_f32_e32 v42, 0x3f737871, v16
	v_add_f32_e32 v7, v37, v7
	v_fmac_f32_e32 v36, 0xbf167918, v18
	v_fmac_f32_e32 v38, 0x3f167918, v28
	v_fmac_f32_e32 v43, 0xbf737871, v9
	v_fma_f32 v50, -0.5, v10, v29
	v_fmac_f32_e32 v27, 0x3f737871, v9
	v_fmac_f32_e32 v42, 0x3f167918, v18
	v_add_f32_e32 v29, v45, v7
	v_sub_f32_e32 v7, v19, v21
	v_sub_f32_e32 v9, v24, v26
	v_fmac_f32_e32 v36, 0x3e9e377a, v13
	v_fmac_f32_e32 v38, 0x3e9e377a, v14
	;; [unrolled: 1-line block ×3, first 2 shown]
	v_mov_b32_e32 v51, v50
	v_fmac_f32_e32 v27, 0xbf167918, v11
	v_fmac_f32_e32 v42, 0x3e9e377a, v13
	v_add_f32_e32 v13, v7, v9
	v_sub_f32_e32 v9, v21, v19
	v_sub_f32_e32 v11, v26, v24
	v_mul_f32_e32 v8, 0x3f4f1bbd, v38
	v_fmac_f32_e32 v51, 0xbf737871, v28
	v_fmac_f32_e32 v50, 0x3f737871, v28
	v_add_f32_e32 v7, v21, v26
	v_add_f32_e32 v11, v9, v11
	;; [unrolled: 1-line block ×3, first 2 shown]
	v_fma_f32 v39, v36, s3, -v8
	v_fmac_f32_e32 v51, 0x3f167918, v32
	v_fmac_f32_e32 v50, 0xbf167918, v32
	;; [unrolled: 1-line block ×3, first 2 shown]
	v_fma_f32 v32, -0.5, v7, v15
	v_mul_f32_e32 v7, 0x3f4f1bbd, v36
	v_fma_f32 v36, -0.5, v9, v15
	v_fmac_f32_e32 v25, 0xbf167918, v28
	v_sub_f32_e32 v0, v0, v23
	v_mov_b32_e32 v23, v32
	v_sub_f32_e32 v4, v4, v46
	v_mov_b32_e32 v37, v36
	v_fmac_f32_e32 v25, 0x3e9e377a, v14
	v_fmac_f32_e32 v23, 0xbf737871, v0
	;; [unrolled: 1-line block ×5, first 2 shown]
	v_mov_b32_e32 v48, v47
	v_fmac_f32_e32 v23, 0xbf167918, v4
	v_fmac_f32_e32 v37, 0xbf167918, v0
	;; [unrolled: 1-line block ×4, first 2 shown]
	v_mul_f32_e32 v0, 0x3f167918, v25
	v_add_f32_e32 v4, v15, v19
	v_fmac_f32_e32 v48, 0x3f737871, v18
	v_fmac_f32_e32 v47, 0xbf737871, v18
	v_fmac_f32_e32 v23, 0x3e9e377a, v13
	v_fma_f32 v33, v38, s1, -v7
	v_fmac_f32_e32 v32, 0x3e9e377a, v13
	v_fmac_f32_e32 v0, 0x3f4f1bbd, v42
	v_add_f32_e32 v4, v4, v21
	v_add_f32_e32 v15, v20, v34
	v_fmac_f32_e32 v48, 0xbf167918, v16
	v_fmac_f32_e32 v47, 0x3f167918, v16
	v_sub_f32_e32 v16, v17, v29
	v_sub_f32_e32 v7, v23, v33
	v_sub_f32_e32 v13, v32, v0
	v_add_f32_e32 v4, v4, v26
	v_add_f32_e32 v15, v22, v15
	;; [unrolled: 1-line block ×5, first 2 shown]
	v_mov_b32_e32 v0, s11
	v_mul_f32_e32 v28, 0xbf167918, v42
	v_add_f32_e32 v15, v31, v15
	v_addc_co_u32_e32 v6, vcc, v0, v6, vcc
	v_lshlrev_b64 v[0:1], 3, v[1:2]
	v_fmac_f32_e32 v28, 0x3f4f1bbd, v25
	v_add_f32_e32 v4, v24, v4
	v_add_f32_e32 v25, v30, v15
	v_sub_f32_e32 v15, v4, v25
	v_add_f32_e32 v25, v4, v25
	v_mov_b32_e32 v4, 0
	v_add_co_u32_e32 v2, vcc, v5, v0
	v_addc_co_u32_e32 v5, vcc, v6, v1, vcc
	v_lshlrev_b64 v[0:1], 3, v[3:4]
	v_fmac_f32_e32 v48, 0x3e9e377a, v44
	v_fmac_f32_e32 v51, 0x3e9e377a, v49
	v_fmac_f32_e32 v50, 0x3e9e377a, v49
	v_fmac_f32_e32 v47, 0x3e9e377a, v44
	v_mul_f32_e32 v10, 0x3e9e377a, v51
	v_mul_f32_e32 v44, 0xbf737871, v47
	;; [unrolled: 1-line block ×4, first 2 shown]
	v_add_co_u32_e32 v0, vcc, v2, v0
	v_fmac_f32_e32 v43, 0x3e9e377a, v12
	v_fma_f32 v52, v48, s2, -v10
	v_fmac_f32_e32 v27, 0x3e9e377a, v12
	v_fmac_f32_e32 v44, 0x3e9e377a, v50
	;; [unrolled: 1-line block ×3, first 2 shown]
	v_fma_f32 v38, v51, s0, -v9
	v_fmac_f32_e32 v36, 0x3e9e377a, v11
	v_fmac_f32_e32 v41, 0x3e9e377a, v47
	v_addc_co_u32_e32 v1, vcc, v5, v1, vcc
	v_sub_f32_e32 v12, v27, v44
	v_sub_f32_e32 v14, v40, v28
	;; [unrolled: 1-line block ×3, first 2 shown]
	v_add_f32_e32 v18, v35, v39
	v_add_f32_e32 v20, v43, v52
	;; [unrolled: 1-line block ×6, first 2 shown]
	global_store_dwordx2 v[0:1], v[25:26], off
	global_store_dwordx2 v[0:1], v[23:24], off offset:528
	global_store_dwordx2 v[0:1], v[21:22], off offset:1056
	;; [unrolled: 1-line block ×7, first 2 shown]
	v_add_co_u32_e32 v0, vcc, 0x1000, v0
	v_sub_f32_e32 v10, v43, v52
	v_sub_f32_e32 v9, v37, v38
	v_addc_co_u32_e32 v1, vcc, 0, v1, vcc
	v_sub_f32_e32 v8, v35, v39
	global_store_dwordx2 v[0:1], v[9:10], off offset:128
	global_store_dwordx2 v[0:1], v[7:8], off offset:656
	s_endpgm
	.section	.rodata,"a",@progbits
	.p2align	6, 0x0
	.amdhsa_kernel fft_rtc_fwd_len660_factors_11_6_10_wgs_110_tpt_110_halfLds_sp_op_CI_CI_unitstride_sbrr_dirReg
		.amdhsa_group_segment_fixed_size 0
		.amdhsa_private_segment_fixed_size 0
		.amdhsa_kernarg_size 104
		.amdhsa_user_sgpr_count 6
		.amdhsa_user_sgpr_private_segment_buffer 1
		.amdhsa_user_sgpr_dispatch_ptr 0
		.amdhsa_user_sgpr_queue_ptr 0
		.amdhsa_user_sgpr_kernarg_segment_ptr 1
		.amdhsa_user_sgpr_dispatch_id 0
		.amdhsa_user_sgpr_flat_scratch_init 0
		.amdhsa_user_sgpr_private_segment_size 0
		.amdhsa_uses_dynamic_stack 0
		.amdhsa_system_sgpr_private_segment_wavefront_offset 0
		.amdhsa_system_sgpr_workgroup_id_x 1
		.amdhsa_system_sgpr_workgroup_id_y 0
		.amdhsa_system_sgpr_workgroup_id_z 0
		.amdhsa_system_sgpr_workgroup_info 0
		.amdhsa_system_vgpr_workitem_id 0
		.amdhsa_next_free_vgpr 68
		.amdhsa_next_free_sgpr 28
		.amdhsa_reserve_vcc 1
		.amdhsa_reserve_flat_scratch 0
		.amdhsa_float_round_mode_32 0
		.amdhsa_float_round_mode_16_64 0
		.amdhsa_float_denorm_mode_32 3
		.amdhsa_float_denorm_mode_16_64 3
		.amdhsa_dx10_clamp 1
		.amdhsa_ieee_mode 1
		.amdhsa_fp16_overflow 0
		.amdhsa_exception_fp_ieee_invalid_op 0
		.amdhsa_exception_fp_denorm_src 0
		.amdhsa_exception_fp_ieee_div_zero 0
		.amdhsa_exception_fp_ieee_overflow 0
		.amdhsa_exception_fp_ieee_underflow 0
		.amdhsa_exception_fp_ieee_inexact 0
		.amdhsa_exception_int_div_zero 0
	.end_amdhsa_kernel
	.text
.Lfunc_end0:
	.size	fft_rtc_fwd_len660_factors_11_6_10_wgs_110_tpt_110_halfLds_sp_op_CI_CI_unitstride_sbrr_dirReg, .Lfunc_end0-fft_rtc_fwd_len660_factors_11_6_10_wgs_110_tpt_110_halfLds_sp_op_CI_CI_unitstride_sbrr_dirReg
                                        ; -- End function
	.section	.AMDGPU.csdata,"",@progbits
; Kernel info:
; codeLenInByte = 5856
; NumSgprs: 32
; NumVgprs: 68
; ScratchSize: 0
; MemoryBound: 0
; FloatMode: 240
; IeeeMode: 1
; LDSByteSize: 0 bytes/workgroup (compile time only)
; SGPRBlocks: 3
; VGPRBlocks: 16
; NumSGPRsForWavesPerEU: 32
; NumVGPRsForWavesPerEU: 68
; Occupancy: 3
; WaveLimiterHint : 1
; COMPUTE_PGM_RSRC2:SCRATCH_EN: 0
; COMPUTE_PGM_RSRC2:USER_SGPR: 6
; COMPUTE_PGM_RSRC2:TRAP_HANDLER: 0
; COMPUTE_PGM_RSRC2:TGID_X_EN: 1
; COMPUTE_PGM_RSRC2:TGID_Y_EN: 0
; COMPUTE_PGM_RSRC2:TGID_Z_EN: 0
; COMPUTE_PGM_RSRC2:TIDIG_COMP_CNT: 0
	.type	__hip_cuid_dea6d4610e4cab05,@object ; @__hip_cuid_dea6d4610e4cab05
	.section	.bss,"aw",@nobits
	.globl	__hip_cuid_dea6d4610e4cab05
__hip_cuid_dea6d4610e4cab05:
	.byte	0                               ; 0x0
	.size	__hip_cuid_dea6d4610e4cab05, 1

	.ident	"AMD clang version 19.0.0git (https://github.com/RadeonOpenCompute/llvm-project roc-6.4.0 25133 c7fe45cf4b819c5991fe208aaa96edf142730f1d)"
	.section	".note.GNU-stack","",@progbits
	.addrsig
	.addrsig_sym __hip_cuid_dea6d4610e4cab05
	.amdgpu_metadata
---
amdhsa.kernels:
  - .args:
      - .actual_access:  read_only
        .address_space:  global
        .offset:         0
        .size:           8
        .value_kind:     global_buffer
      - .offset:         8
        .size:           8
        .value_kind:     by_value
      - .actual_access:  read_only
        .address_space:  global
        .offset:         16
        .size:           8
        .value_kind:     global_buffer
      - .actual_access:  read_only
        .address_space:  global
        .offset:         24
        .size:           8
        .value_kind:     global_buffer
      - .actual_access:  read_only
        .address_space:  global
        .offset:         32
        .size:           8
        .value_kind:     global_buffer
      - .offset:         40
        .size:           8
        .value_kind:     by_value
      - .actual_access:  read_only
        .address_space:  global
        .offset:         48
        .size:           8
        .value_kind:     global_buffer
      - .actual_access:  read_only
        .address_space:  global
        .offset:         56
        .size:           8
        .value_kind:     global_buffer
      - .offset:         64
        .size:           4
        .value_kind:     by_value
      - .actual_access:  read_only
        .address_space:  global
        .offset:         72
        .size:           8
        .value_kind:     global_buffer
      - .actual_access:  read_only
        .address_space:  global
        .offset:         80
        .size:           8
        .value_kind:     global_buffer
      - .actual_access:  read_only
        .address_space:  global
        .offset:         88
        .size:           8
        .value_kind:     global_buffer
      - .actual_access:  write_only
        .address_space:  global
        .offset:         96
        .size:           8
        .value_kind:     global_buffer
    .group_segment_fixed_size: 0
    .kernarg_segment_align: 8
    .kernarg_segment_size: 104
    .language:       OpenCL C
    .language_version:
      - 2
      - 0
    .max_flat_workgroup_size: 110
    .name:           fft_rtc_fwd_len660_factors_11_6_10_wgs_110_tpt_110_halfLds_sp_op_CI_CI_unitstride_sbrr_dirReg
    .private_segment_fixed_size: 0
    .sgpr_count:     32
    .sgpr_spill_count: 0
    .symbol:         fft_rtc_fwd_len660_factors_11_6_10_wgs_110_tpt_110_halfLds_sp_op_CI_CI_unitstride_sbrr_dirReg.kd
    .uniform_work_group_size: 1
    .uses_dynamic_stack: false
    .vgpr_count:     68
    .vgpr_spill_count: 0
    .wavefront_size: 64
amdhsa.target:   amdgcn-amd-amdhsa--gfx906
amdhsa.version:
  - 1
  - 2
...

	.end_amdgpu_metadata
